;; amdgpu-corpus repo=ROCm/rocm-examples kind=compiled arch=gfx1030 opt=O3
	.amdgcn_target "amdgcn-amd-amdhsa--gfx1030"
	.amdhsa_code_object_version 6
	.text
	.protected	_Z21matrix_multiply_naivePfS_S_iii ; -- Begin function _Z21matrix_multiply_naivePfS_S_iii
	.globl	_Z21matrix_multiply_naivePfS_S_iii
	.p2align	8
	.type	_Z21matrix_multiply_naivePfS_S_iii,@function
_Z21matrix_multiply_naivePfS_S_iii:     ; @_Z21matrix_multiply_naivePfS_S_iii
; %bb.0:
	s_clause 0x1
	s_load_dword s8, s[4:5], 0x34
	s_load_dwordx4 s[0:3], s[4:5], 0x18
	s_waitcnt lgkmcnt(0)
	s_lshr_b32 s3, s8, 16
	s_and_b32 s8, s8, 0xffff
	v_mad_u64_u32 v[2:3], null, s6, s8, v[0:1]
	v_mad_u64_u32 v[0:1], null, s7, s3, v[1:2]
	v_cmp_gt_i32_e32 vcc_lo, s1, v2
	v_cmp_gt_i32_e64 s0, s0, v0
	s_and_b32 s0, vcc_lo, s0
	s_and_saveexec_b32 s3, s0
	s_cbranch_execz .LBB0_6
; %bb.1:
	s_clause 0x1
	s_load_dwordx4 s[8:11], s[4:5], 0x0
	s_load_dwordx2 s[4:5], s[4:5], 0x10
	s_cmp_lt_i32 s2, 1
	s_cbranch_scc1 .LBB0_4
; %bb.2:
	v_mul_lo_u32 v3, v0, s2
	v_mov_b32_e32 v1, 0
	v_mov_b32_e32 v5, v2
	v_ashrrev_i32_e32 v4, 31, v3
	v_lshlrev_b64 v[3:4], 2, v[3:4]
	s_waitcnt lgkmcnt(0)
	v_add_co_u32 v3, vcc_lo, s8, v3
	v_add_co_ci_u32_e64 v4, null, s9, v4, vcc_lo
	.p2align	6
.LBB0_3:                                ; =>This Inner Loop Header: Depth=1
	v_ashrrev_i32_e32 v6, 31, v5
	s_add_i32 s2, s2, -1
	s_cmp_eq_u32 s2, 0
	v_lshlrev_b64 v[6:7], 2, v[5:6]
	v_add_nc_u32_e32 v5, s1, v5
	v_add_co_u32 v6, vcc_lo, s10, v6
	v_add_co_ci_u32_e64 v7, null, s11, v7, vcc_lo
	global_load_dword v8, v[3:4], off
	global_load_dword v6, v[6:7], off
	v_add_co_u32 v3, vcc_lo, v3, 4
	v_add_co_ci_u32_e64 v4, null, 0, v4, vcc_lo
	s_waitcnt vmcnt(0)
	v_fmac_f32_e32 v1, v8, v6
	s_cbranch_scc0 .LBB0_3
	s_branch .LBB0_5
.LBB0_4:
	v_mov_b32_e32 v1, 0
.LBB0_5:
	v_mad_u64_u32 v[2:3], null, v0, s1, v[2:3]
	v_ashrrev_i32_e32 v3, 31, v2
	v_lshlrev_b64 v[2:3], 2, v[2:3]
	s_waitcnt lgkmcnt(0)
	v_add_co_u32 v2, vcc_lo, s4, v2
	v_add_co_ci_u32_e64 v3, null, s5, v3, vcc_lo
	global_store_dword v[2:3], v1, off
.LBB0_6:
	s_endpgm
	.section	.rodata,"a",@progbits
	.p2align	6, 0x0
	.amdhsa_kernel _Z21matrix_multiply_naivePfS_S_iii
		.amdhsa_group_segment_fixed_size 0
		.amdhsa_private_segment_fixed_size 0
		.amdhsa_kernarg_size 296
		.amdhsa_user_sgpr_count 6
		.amdhsa_user_sgpr_private_segment_buffer 1
		.amdhsa_user_sgpr_dispatch_ptr 0
		.amdhsa_user_sgpr_queue_ptr 0
		.amdhsa_user_sgpr_kernarg_segment_ptr 1
		.amdhsa_user_sgpr_dispatch_id 0
		.amdhsa_user_sgpr_flat_scratch_init 0
		.amdhsa_user_sgpr_private_segment_size 0
		.amdhsa_wavefront_size32 1
		.amdhsa_uses_dynamic_stack 0
		.amdhsa_system_sgpr_private_segment_wavefront_offset 0
		.amdhsa_system_sgpr_workgroup_id_x 1
		.amdhsa_system_sgpr_workgroup_id_y 1
		.amdhsa_system_sgpr_workgroup_id_z 0
		.amdhsa_system_sgpr_workgroup_info 0
		.amdhsa_system_vgpr_workitem_id 1
		.amdhsa_next_free_vgpr 9
		.amdhsa_next_free_sgpr 12
		.amdhsa_reserve_vcc 1
		.amdhsa_reserve_flat_scratch 0
		.amdhsa_float_round_mode_32 0
		.amdhsa_float_round_mode_16_64 0
		.amdhsa_float_denorm_mode_32 3
		.amdhsa_float_denorm_mode_16_64 3
		.amdhsa_dx10_clamp 1
		.amdhsa_ieee_mode 1
		.amdhsa_fp16_overflow 0
		.amdhsa_workgroup_processor_mode 1
		.amdhsa_memory_ordered 1
		.amdhsa_forward_progress 1
		.amdhsa_shared_vgpr_count 0
		.amdhsa_exception_fp_ieee_invalid_op 0
		.amdhsa_exception_fp_denorm_src 0
		.amdhsa_exception_fp_ieee_div_zero 0
		.amdhsa_exception_fp_ieee_overflow 0
		.amdhsa_exception_fp_ieee_underflow 0
		.amdhsa_exception_fp_ieee_inexact 0
		.amdhsa_exception_int_div_zero 0
	.end_amdhsa_kernel
	.text
.Lfunc_end0:
	.size	_Z21matrix_multiply_naivePfS_S_iii, .Lfunc_end0-_Z21matrix_multiply_naivePfS_S_iii
                                        ; -- End function
	.set _Z21matrix_multiply_naivePfS_S_iii.num_vgpr, 9
	.set _Z21matrix_multiply_naivePfS_S_iii.num_agpr, 0
	.set _Z21matrix_multiply_naivePfS_S_iii.numbered_sgpr, 12
	.set _Z21matrix_multiply_naivePfS_S_iii.num_named_barrier, 0
	.set _Z21matrix_multiply_naivePfS_S_iii.private_seg_size, 0
	.set _Z21matrix_multiply_naivePfS_S_iii.uses_vcc, 1
	.set _Z21matrix_multiply_naivePfS_S_iii.uses_flat_scratch, 0
	.set _Z21matrix_multiply_naivePfS_S_iii.has_dyn_sized_stack, 0
	.set _Z21matrix_multiply_naivePfS_S_iii.has_recursion, 0
	.set _Z21matrix_multiply_naivePfS_S_iii.has_indirect_call, 0
	.section	.AMDGPU.csdata,"",@progbits
; Kernel info:
; codeLenInByte = 336
; TotalNumSgprs: 14
; NumVgprs: 9
; ScratchSize: 0
; MemoryBound: 0
; FloatMode: 240
; IeeeMode: 1
; LDSByteSize: 0 bytes/workgroup (compile time only)
; SGPRBlocks: 0
; VGPRBlocks: 1
; NumSGPRsForWavesPerEU: 14
; NumVGPRsForWavesPerEU: 9
; Occupancy: 16
; WaveLimiterHint : 0
; COMPUTE_PGM_RSRC2:SCRATCH_EN: 0
; COMPUTE_PGM_RSRC2:USER_SGPR: 6
; COMPUTE_PGM_RSRC2:TRAP_HANDLER: 0
; COMPUTE_PGM_RSRC2:TGID_X_EN: 1
; COMPUTE_PGM_RSRC2:TGID_Y_EN: 1
; COMPUTE_PGM_RSRC2:TGID_Z_EN: 0
; COMPUTE_PGM_RSRC2:TIDIG_COMP_CNT: 1
	.text
	.protected	_Z26matrix_multiply_lds_tilingPfS_S_iii ; -- Begin function _Z26matrix_multiply_lds_tilingPfS_S_iii
	.globl	_Z26matrix_multiply_lds_tilingPfS_S_iii
	.p2align	8
	.type	_Z26matrix_multiply_lds_tilingPfS_S_iii,@function
_Z26matrix_multiply_lds_tilingPfS_S_iii: ; @_Z26matrix_multiply_lds_tilingPfS_S_iii
; %bb.0:
	s_clause 0x2
	s_load_dwordx4 s[8:11], s[4:5], 0x18
	s_load_dwordx4 s[12:15], s[4:5], 0x0
	s_load_dwordx2 s[2:3], s[4:5], 0x10
	s_lshl_b32 s1, s6, 4
	v_lshl_add_u32 v5, s7, 4, v1
	v_add_nc_u32_e32 v2, s1, v0
	s_waitcnt lgkmcnt(0)
	v_cmp_gt_i32_e64 s0, s9, v2
	s_cmp_lt_i32 s10, 1
	v_cmp_gt_i32_e32 vcc_lo, s8, v5
	s_cbranch_scc1 .LBB1_7
; %bb.1:
	v_lshlrev_b32_e32 v3, 2, v0
	v_mul_lo_u32 v4, v1, s9
	v_lshlrev_b32_e32 v7, 6, v1
	v_mul_lo_u32 v9, s10, v5
	v_mov_b32_e32 v6, 0
	v_add_nc_u32_e32 v8, 0x400, v3
	s_add_i32 s4, s10, 15
	v_add_nc_u32_e32 v10, v7, v3
	s_lshr_b32 s4, s4, 4
	v_add3_u32 v3, v0, v4, s1
	v_add_nc_u32_e32 v11, v8, v7
	s_lshl_b32 s5, s9, 4
	s_branch .LBB1_3
.LBB1_2:                                ;   in Loop: Header=BB1_3 Depth=1
	s_or_b32 exec_lo, exec_lo, s6
	s_waitcnt vmcnt(0)
	ds_write_b32 v11, v12
	s_waitcnt lgkmcnt(0)
	s_barrier
	buffer_gl0_inv
	ds_read_b128 v[12:15], v7
	ds_read2_b32 v[20:21], v8 offset1:16
	ds_read2_b32 v[22:23], v8 offset0:32 offset1:48
	ds_read_b128 v[16:19], v7 offset:16
	ds_read2_b32 v[24:25], v8 offset0:64 offset1:80
	v_add_nc_u32_e32 v0, 16, v0
	v_add_nc_u32_e32 v3, s5, v3
	;; [unrolled: 1-line block ×3, first 2 shown]
	s_add_i32 s4, s4, -1
	s_cmp_eq_u32 s4, 0
	s_waitcnt lgkmcnt(3)
	v_fmac_f32_e32 v6, v12, v20
	v_fmac_f32_e32 v6, v13, v21
	ds_read2_b32 v[20:21], v8 offset0:96 offset1:112
	s_waitcnt lgkmcnt(3)
	v_fmac_f32_e32 v6, v14, v22
	v_fmac_f32_e32 v6, v15, v23
	ds_read_b128 v[12:15], v7 offset:32
	ds_read2_b32 v[22:23], v8 offset0:128 offset1:144
	s_waitcnt lgkmcnt(3)
	v_fmac_f32_e32 v6, v16, v24
	v_fmac_f32_e32 v6, v17, v25
	ds_read2_b32 v[24:25], v8 offset0:160 offset1:176
	s_waitcnt lgkmcnt(3)
	v_fmac_f32_e32 v6, v18, v20
	v_fmac_f32_e32 v6, v19, v21
	ds_read_b128 v[16:19], v7 offset:48
	ds_read2_b32 v[20:21], v8 offset0:192 offset1:208
	s_waitcnt lgkmcnt(3)
	v_fmac_f32_e32 v6, v12, v22
	v_fmac_f32_e32 v6, v13, v23
	ds_read2_b32 v[12:13], v8 offset0:224 offset1:240
	s_waitcnt lgkmcnt(0)
	s_barrier
	buffer_gl0_inv
	v_fmac_f32_e32 v6, v14, v24
	v_fmac_f32_e32 v6, v15, v25
	;; [unrolled: 1-line block ×6, first 2 shown]
	s_cbranch_scc1 .LBB1_8
.LBB1_3:                                ; =>This Inner Loop Header: Depth=1
	v_cmp_gt_i32_e64 s1, s10, v0
	v_mov_b32_e32 v4, 0
	s_and_b32 s1, vcc_lo, s1
	s_and_saveexec_b32 s6, s1
	s_cbranch_execz .LBB1_5
; %bb.4:                                ;   in Loop: Header=BB1_3 Depth=1
	v_add_nc_u32_e32 v12, v9, v0
	v_ashrrev_i32_e32 v13, 31, v12
	v_lshlrev_b64 v[12:13], 2, v[12:13]
	v_add_co_u32 v12, s1, s12, v12
	v_add_co_ci_u32_e64 v13, null, s13, v13, s1
	global_load_dword v4, v[12:13], off
.LBB1_5:                                ;   in Loop: Header=BB1_3 Depth=1
	s_or_b32 exec_lo, exec_lo, s6
	v_cmp_gt_i32_e64 s1, s10, v1
	v_mov_b32_e32 v12, 0
	s_waitcnt vmcnt(0)
	ds_write_b32 v10, v4
	s_and_b32 s1, s0, s1
	s_and_saveexec_b32 s6, s1
	s_cbranch_execz .LBB1_2
; %bb.6:                                ;   in Loop: Header=BB1_3 Depth=1
	v_ashrrev_i32_e32 v4, 31, v3
	v_lshlrev_b64 v[12:13], 2, v[3:4]
	v_add_co_u32 v12, s1, s14, v12
	v_add_co_ci_u32_e64 v13, null, s15, v13, s1
	global_load_dword v12, v[12:13], off
	s_branch .LBB1_2
.LBB1_7:
	v_mov_b32_e32 v6, 0
.LBB1_8:
	v_cmp_gt_i32_e32 vcc_lo, s8, v5
	v_cmp_gt_i32_e64 s0, s9, v2
	s_and_b32 s0, vcc_lo, s0
	s_and_saveexec_b32 s1, s0
	s_cbranch_execz .LBB1_10
; %bb.9:
	v_mad_u64_u32 v[0:1], null, s9, v5, v[2:3]
	v_ashrrev_i32_e32 v1, 31, v0
	v_lshlrev_b64 v[0:1], 2, v[0:1]
	v_add_co_u32 v0, vcc_lo, s2, v0
	v_add_co_ci_u32_e64 v1, null, s3, v1, vcc_lo
	global_store_dword v[0:1], v6, off
.LBB1_10:
	s_endpgm
	.section	.rodata,"a",@progbits
	.p2align	6, 0x0
	.amdhsa_kernel _Z26matrix_multiply_lds_tilingPfS_S_iii
		.amdhsa_group_segment_fixed_size 2048
		.amdhsa_private_segment_fixed_size 0
		.amdhsa_kernarg_size 36
		.amdhsa_user_sgpr_count 6
		.amdhsa_user_sgpr_private_segment_buffer 1
		.amdhsa_user_sgpr_dispatch_ptr 0
		.amdhsa_user_sgpr_queue_ptr 0
		.amdhsa_user_sgpr_kernarg_segment_ptr 1
		.amdhsa_user_sgpr_dispatch_id 0
		.amdhsa_user_sgpr_flat_scratch_init 0
		.amdhsa_user_sgpr_private_segment_size 0
		.amdhsa_wavefront_size32 1
		.amdhsa_uses_dynamic_stack 0
		.amdhsa_system_sgpr_private_segment_wavefront_offset 0
		.amdhsa_system_sgpr_workgroup_id_x 1
		.amdhsa_system_sgpr_workgroup_id_y 1
		.amdhsa_system_sgpr_workgroup_id_z 0
		.amdhsa_system_sgpr_workgroup_info 0
		.amdhsa_system_vgpr_workitem_id 1
		.amdhsa_next_free_vgpr 26
		.amdhsa_next_free_sgpr 16
		.amdhsa_reserve_vcc 1
		.amdhsa_reserve_flat_scratch 0
		.amdhsa_float_round_mode_32 0
		.amdhsa_float_round_mode_16_64 0
		.amdhsa_float_denorm_mode_32 3
		.amdhsa_float_denorm_mode_16_64 3
		.amdhsa_dx10_clamp 1
		.amdhsa_ieee_mode 1
		.amdhsa_fp16_overflow 0
		.amdhsa_workgroup_processor_mode 1
		.amdhsa_memory_ordered 1
		.amdhsa_forward_progress 1
		.amdhsa_shared_vgpr_count 0
		.amdhsa_exception_fp_ieee_invalid_op 0
		.amdhsa_exception_fp_denorm_src 0
		.amdhsa_exception_fp_ieee_div_zero 0
		.amdhsa_exception_fp_ieee_overflow 0
		.amdhsa_exception_fp_ieee_underflow 0
		.amdhsa_exception_fp_ieee_inexact 0
		.amdhsa_exception_int_div_zero 0
	.end_amdhsa_kernel
	.text
.Lfunc_end1:
	.size	_Z26matrix_multiply_lds_tilingPfS_S_iii, .Lfunc_end1-_Z26matrix_multiply_lds_tilingPfS_S_iii
                                        ; -- End function
	.set _Z26matrix_multiply_lds_tilingPfS_S_iii.num_vgpr, 26
	.set _Z26matrix_multiply_lds_tilingPfS_S_iii.num_agpr, 0
	.set _Z26matrix_multiply_lds_tilingPfS_S_iii.numbered_sgpr, 16
	.set _Z26matrix_multiply_lds_tilingPfS_S_iii.num_named_barrier, 0
	.set _Z26matrix_multiply_lds_tilingPfS_S_iii.private_seg_size, 0
	.set _Z26matrix_multiply_lds_tilingPfS_S_iii.uses_vcc, 1
	.set _Z26matrix_multiply_lds_tilingPfS_S_iii.uses_flat_scratch, 0
	.set _Z26matrix_multiply_lds_tilingPfS_S_iii.has_dyn_sized_stack, 0
	.set _Z26matrix_multiply_lds_tilingPfS_S_iii.has_recursion, 0
	.set _Z26matrix_multiply_lds_tilingPfS_S_iii.has_indirect_call, 0
	.section	.AMDGPU.csdata,"",@progbits
; Kernel info:
; codeLenInByte = 608
; TotalNumSgprs: 18
; NumVgprs: 26
; ScratchSize: 0
; MemoryBound: 0
; FloatMode: 240
; IeeeMode: 1
; LDSByteSize: 2048 bytes/workgroup (compile time only)
; SGPRBlocks: 0
; VGPRBlocks: 3
; NumSGPRsForWavesPerEU: 18
; NumVGPRsForWavesPerEU: 26
; Occupancy: 16
; WaveLimiterHint : 0
; COMPUTE_PGM_RSRC2:SCRATCH_EN: 0
; COMPUTE_PGM_RSRC2:USER_SGPR: 6
; COMPUTE_PGM_RSRC2:TRAP_HANDLER: 0
; COMPUTE_PGM_RSRC2:TGID_X_EN: 1
; COMPUTE_PGM_RSRC2:TGID_Y_EN: 1
; COMPUTE_PGM_RSRC2:TGID_Z_EN: 0
; COMPUTE_PGM_RSRC2:TIDIG_COMP_CNT: 1
	.text
	.protected	_Z31matrix_multiply_register_tilingPfS_S_iii ; -- Begin function _Z31matrix_multiply_register_tilingPfS_S_iii
	.globl	_Z31matrix_multiply_register_tilingPfS_S_iii
	.p2align	8
	.type	_Z31matrix_multiply_register_tilingPfS_S_iii,@function
_Z31matrix_multiply_register_tilingPfS_S_iii: ; @_Z31matrix_multiply_register_tilingPfS_S_iii
; %bb.0:
	s_clause 0x3
	s_load_dword s0, s[4:5], 0x34
	s_load_dwordx4 s[20:23], s[4:5], 0x18
	s_load_dwordx4 s[24:27], s[4:5], 0x0
	s_load_dwordx2 s[18:19], s[4:5], 0x10
	s_waitcnt lgkmcnt(0)
	s_lshl_b32 s23, s7, 6
	s_lshl_b32 s28, s6, 5
	s_and_b32 s0, s0, 0xffff
	s_cmp_lt_i32 s22, 1
	v_mad_u32_u24 v0, v1, s0, v0
	v_lshlrev_b32_e32 v1, 2, v0
	v_and_b32_e32 v2, 28, v0
	v_lshrrev_b32_e32 v3, 1, v0
	v_and_b32_e32 v1, 12, v1
	v_and_or_b32 v42, 0x3ffffe0, v3, v2
	v_and_or_b32 v43, v3, 16, v1
	s_cbranch_scc1 .LBB2_75
; %bb.1:
	v_and_b32_e32 v1, 31, v0
	v_and_b32_e32 v24, 15, v0
	v_add_nc_u32_e32 v3, 0x80, v0
	v_add_nc_u32_e32 v11, 0x180, v0
	v_lshrrev_b32_e32 v2, 4, v0
	v_or_b32_e32 v4, s28, v1
	v_lshlrev_b32_e32 v5, 2, v24
	v_lshrrev_b32_e32 v8, 4, v3
	v_lshrrev_b32_e32 v12, 4, v11
	v_add_nc_u32_e32 v13, 0x200, v0
	v_cmp_gt_i32_e32 vcc_lo, s21, v4
	v_add_nc_u32_e32 v4, 0x100, v0
	v_add_nc_u32_e32 v9, s23, v8
	v_mad_u32_u24 v53, 0x50, v8, v5
	v_add_nc_u32_e32 v8, s23, v12
	v_mad_u32_u24 v56, 0x50, v12, v5
	v_add_nc_u32_e32 v12, 0x380, v0
	v_lshrrev_b32_e32 v10, 4, v4
	v_add_nc_u32_e32 v15, 0x300, v0
	v_add_nc_u32_e32 v7, s23, v2
	v_mad_u32_u24 v51, 0x50, v2, v5
	v_lshrrev_b32_e32 v12, 4, v12
	v_add_nc_u32_e32 v2, s23, v10
	v_mad_u32_u24 v54, 0x50, v10, v5
	v_add_nc_u32_e32 v10, 0x280, v0
	v_lshrrev_b32_e32 v13, 4, v13
	v_add_nc_u32_e32 v17, s23, v12
	v_lshrrev_b32_e32 v15, 4, v15
	v_lshrrev_b32_e32 v60, 5, v0
	;; [unrolled: 1-line block ×3, first 2 shown]
	v_add_nc_u32_e32 v14, s23, v13
	v_mad_u64_u32 v[25:26], null, v17, s22, v[24:25]
	v_mad_u32_u24 v57, 0x50, v13, v5
	v_add_nc_u32_e32 v13, s23, v15
	v_add_nc_u32_e32 v16, s23, v10
	v_lshrrev_b32_e32 v61, 5, v3
	v_lshrrev_b32_e32 v62, 5, v4
	;; [unrolled: 1-line block ×3, first 2 shown]
	v_mad_u64_u32 v[26:27], null, v13, s22, v[24:25]
	v_mad_u64_u32 v[27:28], null, v16, s22, v[24:25]
	;; [unrolled: 1-line block ×4, first 2 shown]
	v_lshl_or_b32 v6, v1, 2, 0x1400
	v_mad_u64_u32 v[30:31], null, v2, s22, v[24:25]
	v_mad_u64_u32 v[31:32], null, v9, s22, v[24:25]
	v_mul_lo_u32 v49, 0x50, v42
	v_mul_lo_u32 v69, s21, v60
	;; [unrolled: 1-line block ×5, first 2 shown]
	v_mad_u64_u32 v[32:33], null, v7, s22, v[24:25]
	v_lshl_or_b32 v50, v43, 2, 0x1400
	v_cmp_gt_i32_e64 s0, s20, v7
	v_cmp_gt_u32_e64 s1, 0x400, v0
	v_cmp_gt_i32_e64 s2, s20, v9
	v_cmp_gt_u32_e64 s3, 0x380, v0
	;; [unrolled: 2-line block ×6, first 2 shown]
	v_mad_u32_u24 v58, 0x50, v10, v5
	v_cmp_gt_i32_e64 s12, s20, v13
	v_cmp_gt_u32_e64 s13, 0x100, v0
	v_mad_u32_u24 v59, 0x50, v15, v5
	v_cmp_gt_i32_e64 s14, s20, v17
	v_cmp_gt_u32_e64 s15, 0x80, v0
	v_mad_u32_u24 v64, 0x50, v12, v5
	v_lshl_add_u32 v65, v60, 7, v6
	v_lshl_add_u32 v66, v61, 7, v6
	;; [unrolled: 1-line block ×4, first 2 shown]
	v_add_nc_u32_e32 v70, s28, v1
	v_mov_b32_e32 v74, 0
	v_mov_b32_e32 v55, 0
	;; [unrolled: 1-line block ×17, first 2 shown]
	s_add_i32 s16, s22, 15
	s_lshl_b32 s30, s21, 4
	s_lshr_b32 s29, s16, 4
	s_mov_b32 s31, 0
	s_branch .LBB2_3
.LBB2_2:                                ;   in Loop: Header=BB2_3 Depth=1
	s_or_b32 exec_lo, exec_lo, s17
	s_waitcnt lgkmcnt(0)
	s_barrier
	buffer_gl0_inv
	ds_read_b128 v[0:3], v49
	ds_read_b128 v[4:7], v50
	ds_read_b128 v[75:78], v49 offset:80
	ds_read_b128 v[79:82], v49 offset:160
	;; [unrolled: 1-line block ×10, first 2 shown]
	v_add_nc_u32_e32 v70, s30, v70
	s_add_i32 s29, s29, -1
	s_add_i32 s31, s31, 16
	s_cmp_eq_u32 s29, 0
	s_waitcnt lgkmcnt(10)
	v_fmac_f32_e32 v55, v0, v4
	v_fmac_f32_e32 v52, v0, v5
	v_fmac_f32_e32 v48, v0, v6
	v_fmac_f32_e32 v47, v0, v7
	s_waitcnt lgkmcnt(9)
	v_fmac_f32_e32 v46, v75, v4
	v_fmac_f32_e32 v45, v75, v5
	v_fmac_f32_e32 v44, v75, v6
	v_fmac_f32_e32 v41, v75, v7
	;; [unrolled: 5-line block ×5, first 2 shown]
	v_fmac_f32_e32 v46, v76, v87
	v_fmac_f32_e32 v45, v76, v88
	;; [unrolled: 1-line block ×12, first 2 shown]
	s_waitcnt lgkmcnt(1)
	v_fmac_f32_e32 v55, v2, v91
	v_fmac_f32_e32 v52, v2, v92
	;; [unrolled: 1-line block ×8, first 2 shown]
	ds_read_b128 v[87:90], v50 offset:512
	v_fmac_f32_e32 v40, v81, v91
	v_fmac_f32_e32 v39, v81, v92
	;; [unrolled: 1-line block ×4, first 2 shown]
	s_waitcnt lgkmcnt(1)
	v_fmac_f32_e32 v55, v3, v95
	v_fmac_f32_e32 v52, v3, v96
	v_fmac_f32_e32 v48, v3, v97
	v_fmac_f32_e32 v47, v3, v98
	v_fmac_f32_e32 v46, v78, v95
	v_fmac_f32_e32 v45, v78, v96
	v_fmac_f32_e32 v44, v78, v97
	v_fmac_f32_e32 v41, v78, v98
	ds_read_b128 v[4:7], v49 offset:32
	ds_read_b128 v[0:3], v49 offset:48
	;; [unrolled: 1-line block ×3, first 2 shown]
	v_fmac_f32_e32 v36, v85, v91
	v_fmac_f32_e32 v35, v85, v92
	;; [unrolled: 1-line block ×8, first 2 shown]
	ds_read_b128 v[79:82], v50 offset:768
	v_fmac_f32_e32 v36, v86, v95
	v_fmac_f32_e32 v35, v86, v96
	;; [unrolled: 1-line block ×4, first 2 shown]
	ds_read_b128 v[83:86], v50 offset:896
	s_waitcnt lgkmcnt(5)
	v_fmac_f32_e32 v55, v8, v87
	v_fmac_f32_e32 v52, v8, v88
	;; [unrolled: 1-line block ×12, first 2 shown]
	s_waitcnt lgkmcnt(2)
	v_fmac_f32_e32 v55, v9, v75
	v_fmac_f32_e32 v52, v9, v76
	v_fmac_f32_e32 v48, v9, v77
	v_fmac_f32_e32 v47, v9, v78
	v_fmac_f32_e32 v46, v17, v75
	v_fmac_f32_e32 v45, v17, v76
	v_fmac_f32_e32 v44, v17, v77
	v_fmac_f32_e32 v41, v17, v78
	v_fmac_f32_e32 v40, v13, v75
	v_fmac_f32_e32 v39, v13, v76
	v_fmac_f32_e32 v38, v13, v77
	v_fmac_f32_e32 v37, v13, v78
	v_fmac_f32_e32 v36, v20, v87
	v_fmac_f32_e32 v35, v20, v88
	v_fmac_f32_e32 v34, v20, v89
	v_fmac_f32_e32 v33, v20, v90
	s_waitcnt lgkmcnt(1)
	v_fmac_f32_e32 v55, v10, v79
	v_fmac_f32_e32 v52, v10, v80
	;; [unrolled: 1-line block ×16, first 2 shown]
	ds_read_b128 v[75:78], v50 offset:1024
	s_waitcnt lgkmcnt(1)
	v_fmac_f32_e32 v55, v11, v83
	v_fmac_f32_e32 v52, v11, v84
	;; [unrolled: 1-line block ×5, first 2 shown]
	ds_read_b128 v[8:11], v49 offset:112
	v_fmac_f32_e32 v45, v19, v84
	v_fmac_f32_e32 v44, v19, v85
	;; [unrolled: 1-line block ×4, first 2 shown]
	ds_read_b128 v[16:19], v49 offset:192
	v_fmac_f32_e32 v39, v15, v84
	v_fmac_f32_e32 v38, v15, v85
	;; [unrolled: 1-line block ×3, first 2 shown]
	ds_read_b128 v[12:15], v49 offset:272
	ds_read_b128 v[87:90], v49 offset:288
	v_fmac_f32_e32 v36, v22, v79
	v_fmac_f32_e32 v35, v22, v80
	;; [unrolled: 1-line block ×4, first 2 shown]
	ds_read_b128 v[91:94], v50 offset:1280
	v_fmac_f32_e32 v36, v23, v83
	v_fmac_f32_e32 v35, v23, v84
	v_fmac_f32_e32 v34, v23, v85
	v_fmac_f32_e32 v33, v23, v86
	ds_read_b128 v[20:23], v50 offset:1152
	s_waitcnt lgkmcnt(6)
	v_fmac_f32_e32 v55, v4, v75
	v_fmac_f32_e32 v52, v4, v76
	v_fmac_f32_e32 v48, v4, v77
	v_fmac_f32_e32 v47, v4, v78
	ds_read_b128 v[79:82], v49 offset:128
	s_waitcnt lgkmcnt(6)
	;; [unrolled: 6-line block ×3, first 2 shown]
	v_fmac_f32_e32 v40, v16, v75
	v_fmac_f32_e32 v39, v16, v76
	;; [unrolled: 1-line block ×4, first 2 shown]
	s_waitcnt lgkmcnt(5)
	v_fmac_f32_e32 v36, v12, v75
	v_fmac_f32_e32 v35, v12, v76
	v_fmac_f32_e32 v34, v12, v77
	v_fmac_f32_e32 v33, v12, v78
	ds_read_b128 v[75:78], v50 offset:1408
	s_waitcnt lgkmcnt(3)
	v_fmac_f32_e32 v55, v5, v20
	v_fmac_f32_e32 v52, v5, v21
	;; [unrolled: 1-line block ×20, first 2 shown]
	ds_read_b128 v[20:23], v50 offset:1536
	v_fmac_f32_e32 v46, v10, v91
	v_fmac_f32_e32 v45, v10, v92
	;; [unrolled: 1-line block ×4, first 2 shown]
	s_waitcnt lgkmcnt(1)
	v_fmac_f32_e32 v55, v7, v75
	v_fmac_f32_e32 v52, v7, v76
	;; [unrolled: 1-line block ×4, first 2 shown]
	ds_read_b128 v[4:7], v50 offset:1664
	v_fmac_f32_e32 v40, v18, v91
	v_fmac_f32_e32 v39, v18, v92
	;; [unrolled: 1-line block ×12, first 2 shown]
	ds_read_b128 v[8:11], v50 offset:1792
	v_fmac_f32_e32 v40, v19, v75
	v_fmac_f32_e32 v39, v19, v76
	;; [unrolled: 1-line block ×8, first 2 shown]
	ds_read_b128 v[12:15], v50 offset:1920
	s_waitcnt lgkmcnt(3)
	v_fmac_f32_e32 v55, v0, v20
	v_fmac_f32_e32 v52, v0, v21
	v_fmac_f32_e32 v48, v0, v22
	v_fmac_f32_e32 v47, v0, v23
	v_fmac_f32_e32 v46, v79, v20
	v_fmac_f32_e32 v45, v79, v21
	v_fmac_f32_e32 v44, v79, v22
	v_fmac_f32_e32 v41, v79, v23
	v_fmac_f32_e32 v40, v83, v20
	v_fmac_f32_e32 v39, v83, v21
	v_fmac_f32_e32 v38, v83, v22
	v_fmac_f32_e32 v37, v83, v23
	v_fmac_f32_e32 v36, v87, v20
	v_fmac_f32_e32 v35, v87, v21
	v_fmac_f32_e32 v34, v87, v22
	v_fmac_f32_e32 v33, v87, v23
	s_waitcnt lgkmcnt(2)
	v_fmac_f32_e32 v55, v1, v4
	v_fmac_f32_e32 v52, v1, v5
	v_fmac_f32_e32 v48, v1, v6
	v_fmac_f32_e32 v47, v1, v7
	v_fmac_f32_e32 v46, v80, v4
	v_fmac_f32_e32 v45, v80, v5
	v_fmac_f32_e32 v44, v80, v6
	v_fmac_f32_e32 v41, v80, v7
	v_fmac_f32_e32 v40, v84, v4
	v_fmac_f32_e32 v39, v84, v5
	v_fmac_f32_e32 v38, v84, v6
	v_fmac_f32_e32 v37, v84, v7
	v_fmac_f32_e32 v36, v88, v4
	v_fmac_f32_e32 v35, v88, v5
	v_fmac_f32_e32 v34, v88, v6
	v_fmac_f32_e32 v33, v88, v7
	;; [unrolled: 17-line block ×4, first 2 shown]
	s_barrier
	buffer_gl0_inv
	s_cbranch_scc1 .LBB2_76
.LBB2_3:                                ; =>This Inner Loop Header: Depth=1
	v_add_nc_u32_e32 v0, s31, v24
	v_cmp_gt_i32_e64 s16, s22, v0
	s_and_b32 s17, s0, s16
	s_and_b32 s17, s17, s1
	s_xor_b32 s17, s17, -1
	s_and_saveexec_b32 s33, s17
	s_xor_b32 s17, exec_lo, s33
	s_cbranch_execz .LBB2_7
; %bb.4:                                ;   in Loop: Header=BB2_3 Depth=1
	s_and_saveexec_b32 s33, s1
; %bb.5:                                ;   in Loop: Header=BB2_3 Depth=1
	ds_write_b32 v51, v74
; %bb.6:                                ;   in Loop: Header=BB2_3 Depth=1
	s_or_b32 exec_lo, exec_lo, s33
.LBB2_7:                                ;   in Loop: Header=BB2_3 Depth=1
	s_andn2_saveexec_b32 s33, s17
	s_cbranch_execz .LBB2_9
; %bb.8:                                ;   in Loop: Header=BB2_3 Depth=1
	v_add_nc_u32_e32 v0, s31, v32
	v_ashrrev_i32_e32 v1, 31, v0
	v_lshlrev_b64 v[0:1], 2, v[0:1]
	v_add_co_u32 v0, s17, s24, v0
	v_add_co_ci_u32_e64 v1, null, s25, v1, s17
	global_load_dword v0, v[0:1], off
	s_waitcnt vmcnt(0)
	ds_write_b32 v51, v0
.LBB2_9:                                ;   in Loop: Header=BB2_3 Depth=1
	s_or_b32 exec_lo, exec_lo, s33
	s_and_b32 s17, s2, s16
	s_and_b32 s17, s17, s3
	s_xor_b32 s17, s17, -1
	s_and_saveexec_b32 s33, s17
	s_xor_b32 s17, exec_lo, s33
	s_cbranch_execz .LBB2_13
; %bb.10:                               ;   in Loop: Header=BB2_3 Depth=1
	s_and_saveexec_b32 s33, s3
; %bb.11:                               ;   in Loop: Header=BB2_3 Depth=1
	ds_write_b32 v53, v74
; %bb.12:                               ;   in Loop: Header=BB2_3 Depth=1
	s_or_b32 exec_lo, exec_lo, s33
.LBB2_13:                               ;   in Loop: Header=BB2_3 Depth=1
	s_andn2_saveexec_b32 s33, s17
	s_cbranch_execz .LBB2_15
; %bb.14:                               ;   in Loop: Header=BB2_3 Depth=1
	v_add_nc_u32_e32 v0, s31, v31
	v_ashrrev_i32_e32 v1, 31, v0
	v_lshlrev_b64 v[0:1], 2, v[0:1]
	v_add_co_u32 v0, s17, s24, v0
	v_add_co_ci_u32_e64 v1, null, s25, v1, s17
	global_load_dword v0, v[0:1], off
	s_waitcnt vmcnt(0)
	ds_write_b32 v53, v0
.LBB2_15:                               ;   in Loop: Header=BB2_3 Depth=1
	s_or_b32 exec_lo, exec_lo, s33
	s_and_b32 s17, s4, s16
	s_and_b32 s17, s17, s5
	s_xor_b32 s17, s17, -1
	s_and_saveexec_b32 s33, s17
	s_xor_b32 s17, exec_lo, s33
	s_cbranch_execz .LBB2_19
; %bb.16:                               ;   in Loop: Header=BB2_3 Depth=1
	s_and_saveexec_b32 s33, s5
; %bb.17:                               ;   in Loop: Header=BB2_3 Depth=1
	ds_write_b32 v54, v74
; %bb.18:                               ;   in Loop: Header=BB2_3 Depth=1
	s_or_b32 exec_lo, exec_lo, s33
.LBB2_19:                               ;   in Loop: Header=BB2_3 Depth=1
	s_andn2_saveexec_b32 s33, s17
	s_cbranch_execz .LBB2_21
; %bb.20:                               ;   in Loop: Header=BB2_3 Depth=1
	v_add_nc_u32_e32 v0, s31, v30
	v_ashrrev_i32_e32 v1, 31, v0
	v_lshlrev_b64 v[0:1], 2, v[0:1]
	v_add_co_u32 v0, s17, s24, v0
	v_add_co_ci_u32_e64 v1, null, s25, v1, s17
	global_load_dword v0, v[0:1], off
	s_waitcnt vmcnt(0)
	ds_write_b32 v54, v0
.LBB2_21:                               ;   in Loop: Header=BB2_3 Depth=1
	;; [unrolled: 26-line block ×7, first 2 shown]
	s_or_b32 exec_lo, exec_lo, s17
	v_add_nc_u32_e32 v0, s31, v60
	v_cmp_gt_i32_e64 s16, s22, v0
	s_and_b32 s16, s16, vcc_lo
	s_and_b32 s16, s16, s9
	s_xor_b32 s16, s16, -1
	s_and_saveexec_b32 s17, s16
	s_xor_b32 s16, exec_lo, s17
	s_cbranch_execz .LBB2_55
; %bb.52:                               ;   in Loop: Header=BB2_3 Depth=1
	s_and_saveexec_b32 s17, s9
; %bb.53:                               ;   in Loop: Header=BB2_3 Depth=1
	ds_write_b32 v65, v74
; %bb.54:                               ;   in Loop: Header=BB2_3 Depth=1
	s_or_b32 exec_lo, exec_lo, s17
.LBB2_55:                               ;   in Loop: Header=BB2_3 Depth=1
	s_andn2_saveexec_b32 s17, s16
	s_cbranch_execz .LBB2_57
; %bb.56:                               ;   in Loop: Header=BB2_3 Depth=1
	v_add_nc_u32_e32 v0, v69, v70
	v_ashrrev_i32_e32 v1, 31, v0
	v_lshlrev_b64 v[0:1], 2, v[0:1]
	v_add_co_u32 v0, s16, s26, v0
	v_add_co_ci_u32_e64 v1, null, s27, v1, s16
	global_load_dword v0, v[0:1], off
	s_waitcnt vmcnt(0)
	ds_write_b32 v65, v0
.LBB2_57:                               ;   in Loop: Header=BB2_3 Depth=1
	s_or_b32 exec_lo, exec_lo, s17
	v_add_nc_u32_e32 v0, s31, v61
	v_cmp_gt_i32_e64 s16, s22, v0
	s_and_b32 s16, s16, vcc_lo
	s_and_b32 s16, s16, s11
	s_xor_b32 s16, s16, -1
	s_and_saveexec_b32 s17, s16
	s_xor_b32 s16, exec_lo, s17
	s_cbranch_execz .LBB2_61
; %bb.58:                               ;   in Loop: Header=BB2_3 Depth=1
	s_and_saveexec_b32 s17, s11
; %bb.59:                               ;   in Loop: Header=BB2_3 Depth=1
	ds_write_b32 v66, v74
; %bb.60:                               ;   in Loop: Header=BB2_3 Depth=1
	s_or_b32 exec_lo, exec_lo, s17
.LBB2_61:                               ;   in Loop: Header=BB2_3 Depth=1
	s_andn2_saveexec_b32 s17, s16
	s_cbranch_execz .LBB2_63
; %bb.62:                               ;   in Loop: Header=BB2_3 Depth=1
	v_add_nc_u32_e32 v0, v71, v70
	v_ashrrev_i32_e32 v1, 31, v0
	v_lshlrev_b64 v[0:1], 2, v[0:1]
	v_add_co_u32 v0, s16, s26, v0
	v_add_co_ci_u32_e64 v1, null, s27, v1, s16
	global_load_dword v0, v[0:1], off
	s_waitcnt vmcnt(0)
	ds_write_b32 v66, v0
.LBB2_63:                               ;   in Loop: Header=BB2_3 Depth=1
	;; [unrolled: 28-line block ×3, first 2 shown]
	s_or_b32 exec_lo, exec_lo, s17
	v_add_nc_u32_e32 v0, s31, v63
	v_cmp_gt_i32_e64 s16, s22, v0
	s_and_b32 s16, s16, vcc_lo
	s_and_b32 s16, s16, s15
	s_xor_b32 s16, s16, -1
	s_and_saveexec_b32 s17, s16
	s_xor_b32 s16, exec_lo, s17
	s_cbranch_execz .LBB2_73
; %bb.70:                               ;   in Loop: Header=BB2_3 Depth=1
	s_and_saveexec_b32 s17, s15
; %bb.71:                               ;   in Loop: Header=BB2_3 Depth=1
	ds_write_b32 v68, v74
; %bb.72:                               ;   in Loop: Header=BB2_3 Depth=1
	s_or_b32 exec_lo, exec_lo, s17
.LBB2_73:                               ;   in Loop: Header=BB2_3 Depth=1
	s_andn2_saveexec_b32 s17, s16
	s_cbranch_execz .LBB2_2
; %bb.74:                               ;   in Loop: Header=BB2_3 Depth=1
	v_add_nc_u32_e32 v0, v73, v70
	v_ashrrev_i32_e32 v1, 31, v0
	v_lshlrev_b64 v[0:1], 2, v[0:1]
	v_add_co_u32 v0, s16, s26, v0
	v_add_co_ci_u32_e64 v1, null, s27, v1, s16
	global_load_dword v0, v[0:1], off
	s_waitcnt vmcnt(0)
	ds_write_b32 v68, v0
	s_branch .LBB2_2
.LBB2_75:
	v_mov_b32_e32 v33, 0
	v_mov_b32_e32 v34, 0
	;; [unrolled: 1-line block ×16, first 2 shown]
.LBB2_76:
	v_add_nc_u32_e32 v1, s23, v42
	v_or_b32_e32 v0, s28, v43
	v_mul_lo_u32 v2, v1, s21
	v_cmp_gt_i32_e64 s3, s20, v1
	v_cmp_gt_i32_e32 vcc_lo, s21, v0
	s_and_b32 s0, s3, vcc_lo
	s_and_saveexec_b32 s1, s0
	s_cbranch_execz .LBB2_78
; %bb.77:
	v_add_nc_u32_e32 v3, v0, v2
	v_ashrrev_i32_e32 v4, 31, v3
	v_lshlrev_b64 v[3:4], 2, v[3:4]
	v_add_co_u32 v3, s0, s18, v3
	v_add_co_ci_u32_e64 v4, null, s19, v4, s0
	global_store_dword v[3:4], v55, off
.LBB2_78:
	s_or_b32 exec_lo, exec_lo, s1
	v_or_b32_e32 v3, 1, v0
	v_cmp_gt_i32_e64 s0, s21, v3
	s_and_b32 s1, s3, s0
	s_and_saveexec_b32 s2, s1
	s_cbranch_execz .LBB2_80
; %bb.79:
	v_ashrrev_i32_e32 v4, 31, v2
	v_ashrrev_i32_e32 v5, 31, v0
	v_add_co_u32 v3, s1, v0, v2
	v_add_co_ci_u32_e64 v4, null, v5, v4, s1
	v_lshlrev_b64 v[3:4], 2, v[3:4]
	v_add_co_u32 v3, s1, s18, v3
	v_add_co_ci_u32_e64 v4, null, s19, v4, s1
	global_store_dword v[3:4], v52, off offset:4
.LBB2_80:
	s_or_b32 exec_lo, exec_lo, s2
	v_or_b32_e32 v3, 2, v0
	v_cmp_gt_i32_e64 s1, s21, v3
	s_and_b32 s2, s3, s1
	s_and_saveexec_b32 s4, s2
	s_cbranch_execz .LBB2_82
; %bb.81:
	v_ashrrev_i32_e32 v4, 31, v2
	v_ashrrev_i32_e32 v5, 31, v0
	v_add_co_u32 v3, s2, v0, v2
	v_add_co_ci_u32_e64 v4, null, v5, v4, s2
	v_lshlrev_b64 v[3:4], 2, v[3:4]
	v_add_co_u32 v3, s2, s18, v3
	v_add_co_ci_u32_e64 v4, null, s19, v4, s2
	global_store_dword v[3:4], v48, off offset:8
.LBB2_82:
	;; [unrolled: 16-line block ×3, first 2 shown]
	s_or_b32 exec_lo, exec_lo, s4
	v_or_b32_e32 v3, 1, v1
	v_add_nc_u32_e32 v2, s21, v2
	v_cmp_gt_i32_e64 s3, s20, v3
	s_and_b32 s4, s3, vcc_lo
	s_and_saveexec_b32 s5, s4
	s_cbranch_execnz .LBB2_99
; %bb.85:
	s_or_b32 exec_lo, exec_lo, s5
	s_and_b32 s4, s3, s0
	s_and_saveexec_b32 s5, s4
	s_cbranch_execnz .LBB2_100
.LBB2_86:
	s_or_b32 exec_lo, exec_lo, s5
	s_and_b32 s4, s3, s1
	s_and_saveexec_b32 s5, s4
	s_cbranch_execnz .LBB2_101
.LBB2_87:
	s_or_b32 exec_lo, exec_lo, s5
	s_and_b32 s3, s3, s2
	s_and_saveexec_b32 s4, s3
	s_cbranch_execz .LBB2_89
.LBB2_88:
	v_ashrrev_i32_e32 v4, 31, v2
	v_ashrrev_i32_e32 v5, 31, v0
	v_add_co_u32 v3, s3, v0, v2
	v_add_co_ci_u32_e64 v4, null, v5, v4, s3
	v_lshlrev_b64 v[3:4], 2, v[3:4]
	v_add_co_u32 v3, s3, s18, v3
	v_add_co_ci_u32_e64 v4, null, s19, v4, s3
	global_store_dword v[3:4], v41, off offset:12
.LBB2_89:
	s_or_b32 exec_lo, exec_lo, s4
	v_or_b32_e32 v3, 2, v1
	v_add_nc_u32_e32 v2, s21, v2
	v_cmp_gt_i32_e64 s3, s20, v3
	s_and_b32 s4, s3, vcc_lo
	s_and_saveexec_b32 s5, s4
	s_cbranch_execnz .LBB2_102
; %bb.90:
	s_or_b32 exec_lo, exec_lo, s5
	s_and_b32 s4, s3, s0
	s_and_saveexec_b32 s5, s4
	s_cbranch_execnz .LBB2_103
.LBB2_91:
	s_or_b32 exec_lo, exec_lo, s5
	s_and_b32 s4, s3, s1
	s_and_saveexec_b32 s5, s4
	s_cbranch_execnz .LBB2_104
.LBB2_92:
	s_or_b32 exec_lo, exec_lo, s5
	s_and_b32 s3, s3, s2
	s_and_saveexec_b32 s4, s3
	s_cbranch_execz .LBB2_94
.LBB2_93:
	v_ashrrev_i32_e32 v4, 31, v2
	v_ashrrev_i32_e32 v5, 31, v0
	v_add_co_u32 v3, s3, v0, v2
	v_add_co_ci_u32_e64 v4, null, v5, v4, s3
	v_lshlrev_b64 v[3:4], 2, v[3:4]
	v_add_co_u32 v3, s3, s18, v3
	v_add_co_ci_u32_e64 v4, null, s19, v4, s3
	global_store_dword v[3:4], v37, off offset:12
.LBB2_94:
	s_or_b32 exec_lo, exec_lo, s4
	v_or_b32_e32 v1, 3, v1
	v_cmp_gt_i32_e64 s3, s20, v1
	v_add_nc_u32_e32 v1, s21, v2
	s_and_b32 s5, s3, vcc_lo
	s_and_saveexec_b32 s4, s5
	s_cbranch_execnz .LBB2_105
; %bb.95:
	s_or_b32 exec_lo, exec_lo, s4
	s_and_b32 s4, s3, s0
	s_and_saveexec_b32 s0, s4
	s_cbranch_execnz .LBB2_106
.LBB2_96:
	s_or_b32 exec_lo, exec_lo, s0
	s_and_b32 s1, s3, s1
	s_and_saveexec_b32 s0, s1
	s_cbranch_execnz .LBB2_107
.LBB2_97:
	s_or_b32 exec_lo, exec_lo, s0
	s_and_b32 s0, s3, s2
	s_and_saveexec_b32 s1, s0
	s_cbranch_execnz .LBB2_108
.LBB2_98:
	s_endpgm
.LBB2_99:
	v_add_nc_u32_e32 v3, v0, v2
	v_ashrrev_i32_e32 v4, 31, v3
	v_lshlrev_b64 v[3:4], 2, v[3:4]
	v_add_co_u32 v3, s4, s18, v3
	v_add_co_ci_u32_e64 v4, null, s19, v4, s4
	global_store_dword v[3:4], v46, off
	s_or_b32 exec_lo, exec_lo, s5
	s_and_b32 s4, s3, s0
	s_and_saveexec_b32 s5, s4
	s_cbranch_execz .LBB2_86
.LBB2_100:
	v_ashrrev_i32_e32 v4, 31, v2
	v_ashrrev_i32_e32 v5, 31, v0
	v_add_co_u32 v3, s4, v0, v2
	v_add_co_ci_u32_e64 v4, null, v5, v4, s4
	v_lshlrev_b64 v[3:4], 2, v[3:4]
	v_add_co_u32 v3, s4, s18, v3
	v_add_co_ci_u32_e64 v4, null, s19, v4, s4
	global_store_dword v[3:4], v45, off offset:4
	s_or_b32 exec_lo, exec_lo, s5
	s_and_b32 s4, s3, s1
	s_and_saveexec_b32 s5, s4
	s_cbranch_execz .LBB2_87
.LBB2_101:
	v_ashrrev_i32_e32 v4, 31, v2
	v_ashrrev_i32_e32 v5, 31, v0
	v_add_co_u32 v3, s4, v0, v2
	v_add_co_ci_u32_e64 v4, null, v5, v4, s4
	v_lshlrev_b64 v[3:4], 2, v[3:4]
	v_add_co_u32 v3, s4, s18, v3
	v_add_co_ci_u32_e64 v4, null, s19, v4, s4
	global_store_dword v[3:4], v44, off offset:8
	s_or_b32 exec_lo, exec_lo, s5
	s_and_b32 s3, s3, s2
	s_and_saveexec_b32 s4, s3
	s_cbranch_execnz .LBB2_88
	s_branch .LBB2_89
.LBB2_102:
	v_add_nc_u32_e32 v3, v0, v2
	v_ashrrev_i32_e32 v4, 31, v3
	v_lshlrev_b64 v[3:4], 2, v[3:4]
	v_add_co_u32 v3, s4, s18, v3
	v_add_co_ci_u32_e64 v4, null, s19, v4, s4
	global_store_dword v[3:4], v40, off
	s_or_b32 exec_lo, exec_lo, s5
	s_and_b32 s4, s3, s0
	s_and_saveexec_b32 s5, s4
	s_cbranch_execz .LBB2_91
.LBB2_103:
	v_ashrrev_i32_e32 v4, 31, v2
	v_ashrrev_i32_e32 v5, 31, v0
	v_add_co_u32 v3, s4, v0, v2
	v_add_co_ci_u32_e64 v4, null, v5, v4, s4
	v_lshlrev_b64 v[3:4], 2, v[3:4]
	v_add_co_u32 v3, s4, s18, v3
	v_add_co_ci_u32_e64 v4, null, s19, v4, s4
	global_store_dword v[3:4], v39, off offset:4
	s_or_b32 exec_lo, exec_lo, s5
	s_and_b32 s4, s3, s1
	s_and_saveexec_b32 s5, s4
	s_cbranch_execz .LBB2_92
.LBB2_104:
	v_ashrrev_i32_e32 v4, 31, v2
	v_ashrrev_i32_e32 v5, 31, v0
	v_add_co_u32 v3, s4, v0, v2
	v_add_co_ci_u32_e64 v4, null, v5, v4, s4
	v_lshlrev_b64 v[3:4], 2, v[3:4]
	v_add_co_u32 v3, s4, s18, v3
	v_add_co_ci_u32_e64 v4, null, s19, v4, s4
	global_store_dword v[3:4], v38, off offset:8
	s_or_b32 exec_lo, exec_lo, s5
	s_and_b32 s3, s3, s2
	s_and_saveexec_b32 s4, s3
	s_cbranch_execnz .LBB2_93
	s_branch .LBB2_94
.LBB2_105:
	v_add_nc_u32_e32 v2, v0, v1
	v_ashrrev_i32_e32 v3, 31, v2
	v_lshlrev_b64 v[2:3], 2, v[2:3]
	v_add_co_u32 v2, vcc_lo, s18, v2
	v_add_co_ci_u32_e64 v3, null, s19, v3, vcc_lo
	global_store_dword v[2:3], v36, off
	s_or_b32 exec_lo, exec_lo, s4
	s_and_b32 s4, s3, s0
	s_and_saveexec_b32 s0, s4
	s_cbranch_execz .LBB2_96
.LBB2_106:
	v_ashrrev_i32_e32 v3, 31, v1
	v_ashrrev_i32_e32 v4, 31, v0
	v_add_co_u32 v2, vcc_lo, v0, v1
	v_add_co_ci_u32_e64 v3, null, v4, v3, vcc_lo
	v_lshlrev_b64 v[2:3], 2, v[2:3]
	v_add_co_u32 v2, vcc_lo, s18, v2
	v_add_co_ci_u32_e64 v3, null, s19, v3, vcc_lo
	global_store_dword v[2:3], v35, off offset:4
	s_or_b32 exec_lo, exec_lo, s0
	s_and_b32 s1, s3, s1
	s_and_saveexec_b32 s0, s1
	s_cbranch_execz .LBB2_97
.LBB2_107:
	v_ashrrev_i32_e32 v3, 31, v1
	v_ashrrev_i32_e32 v4, 31, v0
	v_add_co_u32 v2, vcc_lo, v0, v1
	v_add_co_ci_u32_e64 v3, null, v4, v3, vcc_lo
	v_lshlrev_b64 v[2:3], 2, v[2:3]
	v_add_co_u32 v2, vcc_lo, s18, v2
	v_add_co_ci_u32_e64 v3, null, s19, v3, vcc_lo
	global_store_dword v[2:3], v34, off offset:8
	s_or_b32 exec_lo, exec_lo, s0
	s_and_b32 s0, s3, s2
	s_and_saveexec_b32 s1, s0
	s_cbranch_execz .LBB2_98
.LBB2_108:
	v_ashrrev_i32_e32 v2, 31, v1
	v_ashrrev_i32_e32 v3, 31, v0
	v_add_co_u32 v0, vcc_lo, v0, v1
	v_add_co_ci_u32_e64 v1, null, v3, v2, vcc_lo
	v_lshlrev_b64 v[0:1], 2, v[0:1]
	v_add_co_u32 v0, vcc_lo, s18, v0
	v_add_co_ci_u32_e64 v1, null, s19, v1, vcc_lo
	global_store_dword v[0:1], v33, off offset:12
	s_endpgm
	.section	.rodata,"a",@progbits
	.p2align	6, 0x0
	.amdhsa_kernel _Z31matrix_multiply_register_tilingPfS_S_iii
		.amdhsa_group_segment_fixed_size 7168
		.amdhsa_private_segment_fixed_size 0
		.amdhsa_kernarg_size 296
		.amdhsa_user_sgpr_count 6
		.amdhsa_user_sgpr_private_segment_buffer 1
		.amdhsa_user_sgpr_dispatch_ptr 0
		.amdhsa_user_sgpr_queue_ptr 0
		.amdhsa_user_sgpr_kernarg_segment_ptr 1
		.amdhsa_user_sgpr_dispatch_id 0
		.amdhsa_user_sgpr_flat_scratch_init 0
		.amdhsa_user_sgpr_private_segment_size 0
		.amdhsa_wavefront_size32 1
		.amdhsa_uses_dynamic_stack 0
		.amdhsa_system_sgpr_private_segment_wavefront_offset 0
		.amdhsa_system_sgpr_workgroup_id_x 1
		.amdhsa_system_sgpr_workgroup_id_y 1
		.amdhsa_system_sgpr_workgroup_id_z 0
		.amdhsa_system_sgpr_workgroup_info 0
		.amdhsa_system_vgpr_workitem_id 1
		.amdhsa_next_free_vgpr 99
		.amdhsa_next_free_sgpr 34
		.amdhsa_reserve_vcc 1
		.amdhsa_reserve_flat_scratch 0
		.amdhsa_float_round_mode_32 0
		.amdhsa_float_round_mode_16_64 0
		.amdhsa_float_denorm_mode_32 3
		.amdhsa_float_denorm_mode_16_64 3
		.amdhsa_dx10_clamp 1
		.amdhsa_ieee_mode 1
		.amdhsa_fp16_overflow 0
		.amdhsa_workgroup_processor_mode 1
		.amdhsa_memory_ordered 1
		.amdhsa_forward_progress 1
		.amdhsa_shared_vgpr_count 0
		.amdhsa_exception_fp_ieee_invalid_op 0
		.amdhsa_exception_fp_denorm_src 0
		.amdhsa_exception_fp_ieee_div_zero 0
		.amdhsa_exception_fp_ieee_overflow 0
		.amdhsa_exception_fp_ieee_underflow 0
		.amdhsa_exception_fp_ieee_inexact 0
		.amdhsa_exception_int_div_zero 0
	.end_amdhsa_kernel
	.text
.Lfunc_end2:
	.size	_Z31matrix_multiply_register_tilingPfS_S_iii, .Lfunc_end2-_Z31matrix_multiply_register_tilingPfS_S_iii
                                        ; -- End function
	.set _Z31matrix_multiply_register_tilingPfS_S_iii.num_vgpr, 99
	.set _Z31matrix_multiply_register_tilingPfS_S_iii.num_agpr, 0
	.set _Z31matrix_multiply_register_tilingPfS_S_iii.numbered_sgpr, 34
	.set _Z31matrix_multiply_register_tilingPfS_S_iii.num_named_barrier, 0
	.set _Z31matrix_multiply_register_tilingPfS_S_iii.private_seg_size, 0
	.set _Z31matrix_multiply_register_tilingPfS_S_iii.uses_vcc, 1
	.set _Z31matrix_multiply_register_tilingPfS_S_iii.uses_flat_scratch, 0
	.set _Z31matrix_multiply_register_tilingPfS_S_iii.has_dyn_sized_stack, 0
	.set _Z31matrix_multiply_register_tilingPfS_S_iii.has_recursion, 0
	.set _Z31matrix_multiply_register_tilingPfS_S_iii.has_indirect_call, 0
	.section	.AMDGPU.csdata,"",@progbits
; Kernel info:
; codeLenInByte = 4920
; TotalNumSgprs: 36
; NumVgprs: 99
; ScratchSize: 0
; MemoryBound: 0
; FloatMode: 240
; IeeeMode: 1
; LDSByteSize: 7168 bytes/workgroup (compile time only)
; SGPRBlocks: 0
; VGPRBlocks: 12
; NumSGPRsForWavesPerEU: 36
; NumVGPRsForWavesPerEU: 99
; Occupancy: 9
; WaveLimiterHint : 0
; COMPUTE_PGM_RSRC2:SCRATCH_EN: 0
; COMPUTE_PGM_RSRC2:USER_SGPR: 6
; COMPUTE_PGM_RSRC2:TRAP_HANDLER: 0
; COMPUTE_PGM_RSRC2:TGID_X_EN: 1
; COMPUTE_PGM_RSRC2:TGID_Y_EN: 1
; COMPUTE_PGM_RSRC2:TGID_Z_EN: 0
; COMPUTE_PGM_RSRC2:TIDIG_COMP_CNT: 1
	.text
	.p2alignl 6, 3214868480
	.fill 48, 4, 3214868480
	.section	.AMDGPU.gpr_maximums,"",@progbits
	.set amdgpu.max_num_vgpr, 0
	.set amdgpu.max_num_agpr, 0
	.set amdgpu.max_num_sgpr, 0
	.text
	.type	__hip_cuid_1c78bd7a86d2926d,@object ; @__hip_cuid_1c78bd7a86d2926d
	.section	.bss,"aw",@nobits
	.globl	__hip_cuid_1c78bd7a86d2926d
__hip_cuid_1c78bd7a86d2926d:
	.byte	0                               ; 0x0
	.size	__hip_cuid_1c78bd7a86d2926d, 1

	.ident	"AMD clang version 22.0.0git (https://github.com/RadeonOpenCompute/llvm-project roc-7.2.4 26084 f58b06dce1f9c15707c5f808fd002e18c2accf7e)"
	.section	".note.GNU-stack","",@progbits
	.addrsig
	.addrsig_sym __hip_cuid_1c78bd7a86d2926d
	.amdgpu_metadata
---
amdhsa.kernels:
  - .args:
      - .address_space:  global
        .offset:         0
        .size:           8
        .value_kind:     global_buffer
      - .address_space:  global
        .offset:         8
        .size:           8
        .value_kind:     global_buffer
      - .address_space:  global
        .offset:         16
        .size:           8
        .value_kind:     global_buffer
      - .offset:         24
        .size:           4
        .value_kind:     by_value
      - .offset:         28
        .size:           4
        .value_kind:     by_value
      - .offset:         32
        .size:           4
        .value_kind:     by_value
      - .offset:         40
        .size:           4
        .value_kind:     hidden_block_count_x
      - .offset:         44
        .size:           4
        .value_kind:     hidden_block_count_y
      - .offset:         48
        .size:           4
        .value_kind:     hidden_block_count_z
      - .offset:         52
        .size:           2
        .value_kind:     hidden_group_size_x
      - .offset:         54
        .size:           2
        .value_kind:     hidden_group_size_y
      - .offset:         56
        .size:           2
        .value_kind:     hidden_group_size_z
      - .offset:         58
        .size:           2
        .value_kind:     hidden_remainder_x
      - .offset:         60
        .size:           2
        .value_kind:     hidden_remainder_y
      - .offset:         62
        .size:           2
        .value_kind:     hidden_remainder_z
      - .offset:         80
        .size:           8
        .value_kind:     hidden_global_offset_x
      - .offset:         88
        .size:           8
        .value_kind:     hidden_global_offset_y
      - .offset:         96
        .size:           8
        .value_kind:     hidden_global_offset_z
      - .offset:         104
        .size:           2
        .value_kind:     hidden_grid_dims
    .group_segment_fixed_size: 0
    .kernarg_segment_align: 8
    .kernarg_segment_size: 296
    .language:       OpenCL C
    .language_version:
      - 2
      - 0
    .max_flat_workgroup_size: 1024
    .name:           _Z21matrix_multiply_naivePfS_S_iii
    .private_segment_fixed_size: 0
    .sgpr_count:     14
    .sgpr_spill_count: 0
    .symbol:         _Z21matrix_multiply_naivePfS_S_iii.kd
    .uniform_work_group_size: 1
    .uses_dynamic_stack: false
    .vgpr_count:     9
    .vgpr_spill_count: 0
    .wavefront_size: 32
    .workgroup_processor_mode: 1
  - .args:
      - .address_space:  global
        .offset:         0
        .size:           8
        .value_kind:     global_buffer
      - .address_space:  global
        .offset:         8
        .size:           8
        .value_kind:     global_buffer
      - .address_space:  global
        .offset:         16
        .size:           8
        .value_kind:     global_buffer
      - .offset:         24
        .size:           4
        .value_kind:     by_value
      - .offset:         28
        .size:           4
        .value_kind:     by_value
      - .offset:         32
        .size:           4
        .value_kind:     by_value
    .group_segment_fixed_size: 2048
    .kernarg_segment_align: 8
    .kernarg_segment_size: 36
    .language:       OpenCL C
    .language_version:
      - 2
      - 0
    .max_flat_workgroup_size: 1024
    .name:           _Z26matrix_multiply_lds_tilingPfS_S_iii
    .private_segment_fixed_size: 0
    .sgpr_count:     18
    .sgpr_spill_count: 0
    .symbol:         _Z26matrix_multiply_lds_tilingPfS_S_iii.kd
    .uniform_work_group_size: 1
    .uses_dynamic_stack: false
    .vgpr_count:     26
    .vgpr_spill_count: 0
    .wavefront_size: 32
    .workgroup_processor_mode: 1
  - .args:
      - .address_space:  global
        .offset:         0
        .size:           8
        .value_kind:     global_buffer
      - .address_space:  global
        .offset:         8
        .size:           8
        .value_kind:     global_buffer
      - .address_space:  global
        .offset:         16
        .size:           8
        .value_kind:     global_buffer
      - .offset:         24
        .size:           4
        .value_kind:     by_value
      - .offset:         28
        .size:           4
        .value_kind:     by_value
      - .offset:         32
        .size:           4
        .value_kind:     by_value
      - .offset:         40
        .size:           4
        .value_kind:     hidden_block_count_x
      - .offset:         44
        .size:           4
        .value_kind:     hidden_block_count_y
      - .offset:         48
        .size:           4
        .value_kind:     hidden_block_count_z
      - .offset:         52
        .size:           2
        .value_kind:     hidden_group_size_x
      - .offset:         54
        .size:           2
        .value_kind:     hidden_group_size_y
      - .offset:         56
        .size:           2
        .value_kind:     hidden_group_size_z
      - .offset:         58
        .size:           2
        .value_kind:     hidden_remainder_x
      - .offset:         60
        .size:           2
        .value_kind:     hidden_remainder_y
      - .offset:         62
        .size:           2
        .value_kind:     hidden_remainder_z
      - .offset:         80
        .size:           8
        .value_kind:     hidden_global_offset_x
      - .offset:         88
        .size:           8
        .value_kind:     hidden_global_offset_y
      - .offset:         96
        .size:           8
        .value_kind:     hidden_global_offset_z
      - .offset:         104
        .size:           2
        .value_kind:     hidden_grid_dims
    .group_segment_fixed_size: 7168
    .kernarg_segment_align: 8
    .kernarg_segment_size: 296
    .language:       OpenCL C
    .language_version:
      - 2
      - 0
    .max_flat_workgroup_size: 1024
    .name:           _Z31matrix_multiply_register_tilingPfS_S_iii
    .private_segment_fixed_size: 0
    .sgpr_count:     36
    .sgpr_spill_count: 0
    .symbol:         _Z31matrix_multiply_register_tilingPfS_S_iii.kd
    .uniform_work_group_size: 1
    .uses_dynamic_stack: false
    .vgpr_count:     99
    .vgpr_spill_count: 0
    .wavefront_size: 32
    .workgroup_processor_mode: 1
amdhsa.target:   amdgcn-amd-amdhsa--gfx1030
amdhsa.version:
  - 1
  - 2
...

	.end_amdgpu_metadata
